;; amdgpu-corpus repo=ROCm/rocFFT kind=compiled arch=gfx1030 opt=O3
	.text
	.amdgcn_target "amdgcn-amd-amdhsa--gfx1030"
	.amdhsa_code_object_version 6
	.protected	fft_rtc_fwd_len49_factors_7_7_wgs_196_tpt_7_sp_op_CI_CI_sbrc_xy_z_diag_dirReg ; -- Begin function fft_rtc_fwd_len49_factors_7_7_wgs_196_tpt_7_sp_op_CI_CI_sbrc_xy_z_diag_dirReg
	.globl	fft_rtc_fwd_len49_factors_7_7_wgs_196_tpt_7_sp_op_CI_CI_sbrc_xy_z_diag_dirReg
	.p2align	8
	.type	fft_rtc_fwd_len49_factors_7_7_wgs_196_tpt_7_sp_op_CI_CI_sbrc_xy_z_diag_dirReg,@function
fft_rtc_fwd_len49_factors_7_7_wgs_196_tpt_7_sp_op_CI_CI_sbrc_xy_z_diag_dirReg: ; @fft_rtc_fwd_len49_factors_7_7_wgs_196_tpt_7_sp_op_CI_CI_sbrc_xy_z_diag_dirReg
; %bb.0:
	s_load_dwordx8 s[8:15], s[4:5], 0x0
	s_waitcnt lgkmcnt(0)
	s_load_dwordx4 s[0:3], s[12:13], 0x8
	s_clause 0x1
	s_load_dwordx4 s[16:19], s[14:15], 0x0
	s_load_dword s22, s[14:15], 0x10
	s_mov_b32 s13, 0
	s_waitcnt lgkmcnt(0)
	s_add_i32 s1, s2, -1
	s_lshr_b32 s1, s1, 2
	s_mul_hi_u32 s1, s1, 0x24924925
	s_add_i32 s1, s1, 1
	s_mul_i32 s1, s1, s0
	v_cvt_f32_u32_e32 v1, s1
	s_sub_i32 s2, 0, s1
	v_rcp_iflag_f32_e32 v1, v1
	v_mul_f32_e32 v1, 0x4f7ffffe, v1
	v_cvt_u32_f32_e32 v1, v1
	v_readfirstlane_b32 s0, v1
	v_mul_u32_u24_e32 v1, 0x53a, v0
	s_mul_i32 s2, s2, s0
	v_lshrrev_b32_e32 v17, 16, v1
	s_mul_hi_u32 s2, s0, s2
	s_add_i32 s0, s0, s2
	v_mul_lo_u16 v1, v17, 49
	s_mul_hi_u32 s0, s6, s0
	s_mul_i32 s2, s0, s1
	s_add_i32 s3, s0, 1
	s_sub_i32 s2, s6, s2
	v_sub_nc_u16 v18, v0, v1
	s_sub_i32 s7, s2, s1
	s_cmp_ge_u32 s2, s1
	s_cselect_b32 s0, s3, s0
	s_cselect_b32 s2, s7, s2
	s_add_i32 s3, s0, 1
	s_cmp_ge_u32 s2, s1
	v_and_b32_e32 v2, 0xffff, v18
	s_cselect_b32 s20, s3, s0
	v_mul_lo_u16 v18, v18, 28
	s_mul_i32 s0, s20, s1
	s_sub_i32 s0, s6, s0
	v_mad_u64_u32 v[3:4], null, s16, v2, 0
	s_mul_hi_u32 s1, s0, 0x24924925
	s_sub_i32 s2, s0, s1
	s_lshr_b32 s2, s2, 1
	s_add_i32 s2, s2, s1
	v_mov_b32_e32 v1, v4
	s_lshr_b32 s1, s2, 2
	s_mul_i32 s2, s1, 7
	s_sub_i32 s21, s0, s2
	v_mad_u64_u32 v[4:5], null, s17, v2, v[1:2]
	s_add_i32 s1, s1, s21
	s_mul_i32 s21, s21, 28
	s_mul_hi_u32 s0, s1, 0x5397829d
	s_mul_i32 s2, s21, s22
	s_lshr_b32 s0, s0, 4
	v_mul_lo_u32 v1, s22, v17
	s_mul_i32 s0, s0, 49
	v_mov_b32_e32 v2, 0
	s_sub_i32 s19, s1, s0
	s_lshl_b64 s[0:1], s[10:11], 3
	s_mul_i32 s3, s19, s18
	v_lshlrev_b64 v[3:4], 3, v[3:4]
	s_add_i32 s12, s3, s2
	s_add_u32 s2, s14, s0
	s_addc_u32 s3, s15, s1
	s_load_dwordx2 s[14:15], s[4:5], 0x20
	s_load_dwordx2 s[6:7], s[2:3], 0x0
	v_lshlrev_b64 v[5:6], 3, v[1:2]
	v_lshlrev_b32_e32 v17, 3, v17
	s_waitcnt lgkmcnt(0)
	s_mul_i32 s2, s7, s20
	s_mul_hi_u32 s3, s6, s20
	s_mul_i32 s6, s6, s20
	s_add_i32 s7, s3, s2
	s_add_u32 s0, s14, s0
	s_addc_u32 s1, s15, s1
	s_load_dwordx2 s[10:11], s[0:1], 0x0
	s_load_dwordx4 s[0:3], s[4:5], 0x58
	s_lshl_b64 s[4:5], s[6:7], 3
	s_waitcnt lgkmcnt(0)
	s_mul_i32 s11, s11, s20
	s_mul_hi_u32 s16, s10, s20
	s_mul_i32 s10, s10, s20
	s_add_i32 s11, s16, s11
	s_add_u32 s4, s0, s4
	s_addc_u32 s5, s1, s5
	s_lshl_b64 s[0:1], s[12:13], 3
	s_add_u32 s0, s4, s0
	s_addc_u32 s1, s5, s1
	s_lshl_b32 s4, s22, 2
	v_add_co_u32 v19, vcc_lo, s0, v3
	v_add_nc_u32_e32 v1, s4, v1
	v_add_co_ci_u32_e32 v20, vcc_lo, s1, v4, vcc_lo
	v_add_co_u32 v5, vcc_lo, v19, v5
	v_lshlrev_b64 v[3:4], 3, v[1:2]
	v_add_nc_u32_e32 v1, s4, v1
	v_add_co_ci_u32_e32 v6, vcc_lo, v20, v6, vcc_lo
	v_lshlrev_b64 v[7:8], 3, v[1:2]
	v_add_nc_u32_e32 v1, s4, v1
	v_add_co_u32 v3, vcc_lo, v19, v3
	v_add_co_ci_u32_e32 v4, vcc_lo, v20, v4, vcc_lo
	v_lshlrev_b64 v[9:10], 3, v[1:2]
	v_add_nc_u32_e32 v1, s4, v1
	v_add_co_u32 v7, vcc_lo, v19, v7
	;; [unrolled: 4-line block ×4, first 2 shown]
	v_add_co_ci_u32_e32 v12, vcc_lo, v20, v12, vcc_lo
	v_lshlrev_b64 v[15:16], 3, v[1:2]
	v_add_co_u32 v13, vcc_lo, v19, v13
	v_add_co_ci_u32_e32 v14, vcc_lo, v20, v14, vcc_lo
	v_mul_u32_u24_e32 v1, 0x925, v0
	v_add_co_u32 v15, vcc_lo, v19, v15
	v_add_co_ci_u32_e32 v16, vcc_lo, v20, v16, vcc_lo
	s_clause 0x6
	global_load_dwordx2 v[5:6], v[5:6], off
	global_load_dwordx2 v[3:4], v[3:4], off
	;; [unrolled: 1-line block ×7, first 2 shown]
	v_lshrrev_b32_e32 v1, 16, v1
	v_mov_b32_e32 v20, 3
	s_clause 0x1
	s_load_dwordx4 s[4:7], s[14:15], 0x0
	s_load_dword s0, s[14:15], 0x10
	v_mul_lo_u16 v19, v1, 28
	v_mul_u32_u24_e32 v21, 0xe0, v1
	v_mul_lo_u16 v22, v1, 37
	v_lshlrev_b32_sdwa v18, v20, v18 dst_sel:DWORD dst_unused:UNUSED_PAD src0_sel:DWORD src1_sel:WORD_0
	v_sub_nc_u16 v19, v0, v19
	v_mul_u32_u24_e32 v0, 0x14f, v0
	v_lshrrev_b16 v20, 8, v22
	v_and_b32_e32 v19, 0xffff, v19
	v_lshrrev_b32_e32 v0, 16, v0
	v_lshlrev_b32_e32 v23, 3, v19
	v_mul_lo_u16 v0, v0, 49
	s_waitcnt lgkmcnt(0)
	s_mul_i32 s12, s19, s0
	s_mul_i32 s7, s6, 7
	v_add3_u32 v39, 0, v21, v23
	v_add3_u32 v21, 0, v18, v17
	;; [unrolled: 1-line block ×3, first 2 shown]
	v_mov_b32_e32 v18, 6
	s_waitcnt vmcnt(6)
	ds_write_b64 v21, v[5:6]
	s_waitcnt vmcnt(4)
	ds_write2_b64 v17, v[3:4], v[7:8] offset0:4 offset1:8
	s_waitcnt vmcnt(2)
	ds_write2_b64 v17, v[9:10], v[11:12] offset0:12 offset1:16
	;; [unrolled: 2-line block ×3, first 2 shown]
	v_add_nc_u32_e32 v22, 0xc00, v39
	v_add_nc_u32_e32 v23, 0x1800, v39
	s_waitcnt lgkmcnt(0)
	s_barrier
	buffer_gl0_inv
	ds_read2_b64 v[3:6], v39 offset1:196
	ds_read_b64 v[15:16], v39 offset:9408
	ds_read2_b64 v[7:10], v22 offset0:8 offset1:204
	ds_read2_b64 v[11:14], v23 offset0:16 offset1:212
	v_mul_lo_u16 v17, v20, 7
	s_waitcnt lgkmcnt(0)
	s_barrier
	buffer_gl0_inv
	v_sub_nc_u16 v17, v1, v17
	v_mad_u32_u24 v1, 0x540, v1, v39
	v_mul_u32_u24_sdwa v18, v17, v18 dst_sel:DWORD dst_unused:UNUSED_PAD src0_sel:BYTE_0 src1_sel:DWORD
	v_add_nc_u32_sdwa v0, v17, v0 dst_sel:DWORD dst_unused:UNUSED_PAD src0_sel:BYTE_0 src1_sel:WORD_0
	v_lshlrev_b32_e32 v18, 3, v18
	v_add_f32_e32 v20, v5, v15
	v_add_f32_e32 v21, v6, v16
	v_sub_f32_e32 v5, v5, v15
	v_sub_f32_e32 v6, v6, v16
	v_add_f32_e32 v15, v7, v13
	v_add_f32_e32 v16, v8, v14
	v_sub_f32_e32 v7, v7, v13
	v_sub_f32_e32 v8, v8, v14
	;; [unrolled: 4-line block ×4, first 2 shown]
	v_sub_f32_e32 v20, v20, v13
	v_sub_f32_e32 v21, v21, v14
	;; [unrolled: 1-line block ×4, first 2 shown]
	v_add_f32_e32 v26, v9, v7
	v_add_f32_e32 v27, v10, v8
	v_sub_f32_e32 v28, v9, v7
	v_sub_f32_e32 v29, v10, v8
	v_add_f32_e32 v11, v13, v11
	v_add_f32_e32 v12, v14, v12
	v_sub_f32_e32 v9, v5, v9
	v_sub_f32_e32 v10, v6, v10
	;; [unrolled: 1-line block ×4, first 2 shown]
	v_add_f32_e32 v5, v26, v5
	v_add_f32_e32 v6, v27, v6
	v_mul_f32_e32 v13, 0x3f4a47b2, v20
	v_mul_f32_e32 v14, 0x3f4a47b2, v21
	;; [unrolled: 1-line block ×6, first 2 shown]
	v_add_f32_e32 v3, v11, v3
	v_add_f32_e32 v4, v12, v4
	v_mul_f32_e32 v28, 0x3f5ff5aa, v7
	v_mul_f32_e32 v29, 0x3f5ff5aa, v8
	v_fmamk_f32 v15, v15, 0x3d64c772, v13
	v_fmamk_f32 v16, v16, 0x3d64c772, v14
	v_fma_f32 v20, 0x3f3bfb3b, v24, -v20
	v_fma_f32 v21, 0x3f3bfb3b, v25, -v21
	;; [unrolled: 1-line block ×4, first 2 shown]
	v_fmamk_f32 v24, v9, 0x3eae86e6, v26
	v_fmamk_f32 v25, v10, 0x3eae86e6, v27
	v_fma_f32 v26, 0x3f5ff5aa, v7, -v26
	v_fma_f32 v27, 0x3f5ff5aa, v8, -v27
	v_mov_b32_e32 v7, v3
	v_mov_b32_e32 v8, v4
	v_fma_f32 v28, 0xbeae86e6, v9, -v28
	v_fma_f32 v29, 0xbeae86e6, v10, -v29
	v_fmac_f32_e32 v24, 0x3ee1c552, v5
	v_fmac_f32_e32 v7, 0xbf955555, v11
	;; [unrolled: 1-line block ×6, first 2 shown]
	v_add_f32_e32 v15, v15, v7
	v_add_f32_e32 v16, v16, v8
	v_fmac_f32_e32 v28, 0x3ee1c552, v5
	v_fmac_f32_e32 v29, 0x3ee1c552, v6
	v_add_f32_e32 v11, v20, v7
	v_add_f32_e32 v13, v13, v7
	;; [unrolled: 1-line block ×5, first 2 shown]
	v_sub_f32_e32 v6, v16, v24
	v_add_f32_e32 v7, v29, v13
	v_sub_f32_e32 v8, v14, v28
	v_sub_f32_e32 v9, v11, v27
	v_add_f32_e32 v10, v26, v12
	v_add_f32_e32 v11, v27, v11
	v_sub_f32_e32 v12, v12, v26
	v_sub_f32_e32 v13, v13, v29
	v_add_f32_e32 v14, v28, v14
	v_sub_f32_e32 v15, v15, v25
	v_add_f32_e32 v16, v24, v16
	ds_write2_b64 v1, v[3:4], v[5:6] offset1:28
	ds_write2_b64 v1, v[7:8], v[9:10] offset0:56 offset1:84
	ds_write2_b64 v1, v[11:12], v[13:14] offset0:112 offset1:140
	ds_write_b64 v1, v[15:16] offset:1344
	s_waitcnt lgkmcnt(0)
	s_barrier
	buffer_gl0_inv
	s_clause 0x2
	global_load_dwordx4 v[3:6], v18, s[8:9]
	global_load_dwordx4 v[7:10], v18, s[8:9] offset:16
	global_load_dwordx4 v[11:14], v18, s[8:9] offset:32
	v_add_co_u32 v1, s1, s21, v19
	v_add_co_ci_u32_e64 v15, null, 0, 0, s1
	ds_read2_b64 v[23:26], v23 offset0:16 offset1:212
	v_mul_lo_u32 v19, v1, s5
	v_mul_lo_u32 v18, v15, s4
	v_mad_u64_u32 v[15:16], null, v1, s4, 0
	v_mul_lo_u32 v1, v0, s6
	s_lshl_b64 s[4:5], s[10:11], 3
	s_add_u32 s2, s2, s4
	s_addc_u32 s3, s3, s5
	s_lshl_b64 s[0:1], s[12:13], 3
	v_add3_u32 v16, v16, v19, v18
	s_add_u32 s0, s2, s0
	v_lshlrev_b64 v[17:18], 3, v[1:2]
	v_add_nc_u32_e32 v1, s7, v1
	s_addc_u32 s1, s3, s1
	v_lshlrev_b64 v[15:16], 3, v[15:16]
	v_add_co_u32 v41, vcc_lo, s0, v15
	v_add_co_ci_u32_e32 v42, vcc_lo, s1, v16, vcc_lo
	v_lshlrev_b64 v[15:16], 3, v[1:2]
	v_add_nc_u32_e32 v1, s7, v1
	v_add_co_u32 v27, vcc_lo, v41, v17
	v_add_co_ci_u32_e32 v28, vcc_lo, v42, v18, vcc_lo
	v_lshlrev_b64 v[17:18], 3, v[1:2]
	v_add_nc_u32_e32 v1, s7, v1
	v_add_co_u32 v29, vcc_lo, v41, v15
	v_add_co_ci_u32_e32 v30, vcc_lo, v42, v16, vcc_lo
	v_lshlrev_b64 v[19:20], 3, v[1:2]
	v_add_co_u32 v31, vcc_lo, v41, v17
	v_add_nc_u32_e32 v1, s7, v1
	v_add_co_ci_u32_e32 v32, vcc_lo, v42, v18, vcc_lo
	v_add_co_u32 v35, vcc_lo, v41, v19
	ds_read2_b64 v[15:18], v39 offset1:196
	v_add_co_ci_u32_e32 v36, vcc_lo, v42, v20, vcc_lo
	ds_read2_b64 v[19:22], v22 offset0:8 offset1:204
	ds_read_b64 v[39:40], v39 offset:9408
	v_lshlrev_b64 v[33:34], 3, v[1:2]
	v_add_nc_u32_e32 v1, s7, v1
	v_lshlrev_b64 v[37:38], 3, v[1:2]
	v_add_nc_u32_e32 v1, s7, v1
	v_add_co_u32 v33, vcc_lo, v41, v33
	v_add_co_ci_u32_e32 v34, vcc_lo, v42, v34, vcc_lo
	v_lshlrev_b64 v[0:1], 3, v[1:2]
	v_add_co_u32 v37, vcc_lo, v41, v37
	v_add_co_ci_u32_e32 v38, vcc_lo, v42, v38, vcc_lo
	v_add_co_u32 v0, vcc_lo, v41, v0
	v_add_co_ci_u32_e32 v1, vcc_lo, v42, v1, vcc_lo
	s_waitcnt vmcnt(2) lgkmcnt(2)
	v_mul_f32_e32 v2, v4, v18
	v_mul_f32_e32 v4, v4, v17
	s_waitcnt lgkmcnt(1)
	v_mul_f32_e32 v41, v6, v20
	v_mul_f32_e32 v6, v6, v19
	s_waitcnt vmcnt(1)
	v_mul_f32_e32 v42, v8, v22
	v_mul_f32_e32 v8, v8, v21
	;; [unrolled: 1-line block ×4, first 2 shown]
	s_waitcnt vmcnt(0)
	v_mul_f32_e32 v44, v12, v26
	v_mul_f32_e32 v12, v12, v25
	s_waitcnt lgkmcnt(0)
	v_mul_f32_e32 v45, v14, v40
	v_mul_f32_e32 v14, v14, v39
	v_fma_f32 v2, v3, v17, -v2
	v_fmac_f32_e32 v4, v3, v18
	v_fma_f32 v3, v5, v19, -v41
	v_fmac_f32_e32 v6, v5, v20
	;; [unrolled: 2-line block ×3, first 2 shown]
	v_fma_f32 v7, v9, v23, -v43
	v_fma_f32 v17, v13, v39, -v45
	v_fmac_f32_e32 v14, v13, v40
	v_fmac_f32_e32 v10, v9, v24
	v_fma_f32 v9, v11, v25, -v44
	v_fmac_f32_e32 v12, v11, v26
	v_add_f32_e32 v11, v2, v17
	v_add_f32_e32 v13, v4, v14
	v_sub_f32_e32 v2, v2, v17
	v_sub_f32_e32 v4, v4, v14
	v_add_f32_e32 v14, v3, v9
	v_add_f32_e32 v17, v6, v12
	v_sub_f32_e32 v3, v3, v9
	v_sub_f32_e32 v6, v6, v12
	;; [unrolled: 4-line block ×4, first 2 shown]
	v_sub_f32_e32 v11, v11, v9
	v_sub_f32_e32 v13, v13, v12
	;; [unrolled: 1-line block ×4, first 2 shown]
	v_add_f32_e32 v20, v5, v3
	v_add_f32_e32 v21, v7, v6
	v_sub_f32_e32 v22, v5, v3
	v_sub_f32_e32 v23, v7, v6
	;; [unrolled: 1-line block ×3, first 2 shown]
	v_add_f32_e32 v8, v9, v8
	v_add_f32_e32 v9, v12, v10
	v_sub_f32_e32 v6, v6, v4
	v_sub_f32_e32 v5, v2, v5
	;; [unrolled: 1-line block ×3, first 2 shown]
	v_add_f32_e32 v10, v20, v2
	v_add_f32_e32 v4, v21, v4
	v_mul_f32_e32 v11, 0x3f4a47b2, v11
	v_mul_f32_e32 v12, 0x3f4a47b2, v13
	v_mul_f32_e32 v13, 0x3d64c772, v14
	v_mul_f32_e32 v20, 0x3d64c772, v17
	v_mul_f32_e32 v21, 0xbf08b237, v22
	v_mul_f32_e32 v22, 0xbf08b237, v23
	v_mul_f32_e32 v23, 0x3f5ff5aa, v24
	v_add_f32_e32 v2, v8, v15
	v_add_f32_e32 v3, v9, v16
	v_mul_f32_e32 v25, 0x3f5ff5aa, v6
	v_fmamk_f32 v14, v14, 0x3d64c772, v11
	v_fmamk_f32 v15, v17, 0x3d64c772, v12
	v_fma_f32 v13, 0x3f3bfb3b, v18, -v13
	v_fma_f32 v16, 0x3f3bfb3b, v19, -v20
	;; [unrolled: 1-line block ×4, first 2 shown]
	v_fmamk_f32 v17, v5, 0x3eae86e6, v21
	v_fmamk_f32 v18, v7, 0x3eae86e6, v22
	v_fma_f32 v19, 0x3f5ff5aa, v24, -v21
	v_fma_f32 v20, 0x3f5ff5aa, v6, -v22
	;; [unrolled: 1-line block ×3, first 2 shown]
	v_fmamk_f32 v5, v8, 0xbf955555, v2
	v_fmamk_f32 v6, v9, 0xbf955555, v3
	v_fma_f32 v22, 0xbeae86e6, v7, -v25
	v_fmac_f32_e32 v17, 0x3ee1c552, v10
	v_fmac_f32_e32 v18, 0x3ee1c552, v4
	v_add_f32_e32 v14, v14, v5
	v_add_f32_e32 v15, v15, v6
	v_fmac_f32_e32 v19, 0x3ee1c552, v10
	v_fmac_f32_e32 v21, 0x3ee1c552, v10
	;; [unrolled: 1-line block ×3, first 2 shown]
	v_add_f32_e32 v10, v11, v5
	v_add_f32_e32 v11, v12, v6
	v_fmac_f32_e32 v20, 0x3ee1c552, v4
	v_add_f32_e32 v8, v13, v5
	v_add_f32_e32 v9, v16, v6
	global_store_dwordx2 v[27:28], v[2:3], off
	v_add_f32_e32 v2, v18, v14
	v_sub_f32_e32 v3, v15, v17
	v_add_f32_e32 v4, v22, v10
	v_sub_f32_e32 v5, v11, v21
	v_sub_f32_e32 v6, v8, v20
	v_add_f32_e32 v7, v19, v9
	v_add_f32_e32 v8, v20, v8
	v_sub_f32_e32 v9, v9, v19
	v_sub_f32_e32 v10, v10, v22
	v_add_f32_e32 v11, v21, v11
	v_sub_f32_e32 v12, v14, v18
	v_add_f32_e32 v13, v17, v15
	global_store_dwordx2 v[29:30], v[2:3], off
	global_store_dwordx2 v[31:32], v[4:5], off
	;; [unrolled: 1-line block ×6, first 2 shown]
	s_endpgm
	.section	.rodata,"a",@progbits
	.p2align	6, 0x0
	.amdhsa_kernel fft_rtc_fwd_len49_factors_7_7_wgs_196_tpt_7_sp_op_CI_CI_sbrc_xy_z_diag_dirReg
		.amdhsa_group_segment_fixed_size 0
		.amdhsa_private_segment_fixed_size 0
		.amdhsa_kernarg_size 104
		.amdhsa_user_sgpr_count 6
		.amdhsa_user_sgpr_private_segment_buffer 1
		.amdhsa_user_sgpr_dispatch_ptr 0
		.amdhsa_user_sgpr_queue_ptr 0
		.amdhsa_user_sgpr_kernarg_segment_ptr 1
		.amdhsa_user_sgpr_dispatch_id 0
		.amdhsa_user_sgpr_flat_scratch_init 0
		.amdhsa_user_sgpr_private_segment_size 0
		.amdhsa_wavefront_size32 1
		.amdhsa_uses_dynamic_stack 0
		.amdhsa_system_sgpr_private_segment_wavefront_offset 0
		.amdhsa_system_sgpr_workgroup_id_x 1
		.amdhsa_system_sgpr_workgroup_id_y 0
		.amdhsa_system_sgpr_workgroup_id_z 0
		.amdhsa_system_sgpr_workgroup_info 0
		.amdhsa_system_vgpr_workitem_id 0
		.amdhsa_next_free_vgpr 46
		.amdhsa_next_free_sgpr 23
		.amdhsa_reserve_vcc 1
		.amdhsa_reserve_flat_scratch 0
		.amdhsa_float_round_mode_32 0
		.amdhsa_float_round_mode_16_64 0
		.amdhsa_float_denorm_mode_32 3
		.amdhsa_float_denorm_mode_16_64 3
		.amdhsa_dx10_clamp 1
		.amdhsa_ieee_mode 1
		.amdhsa_fp16_overflow 0
		.amdhsa_workgroup_processor_mode 1
		.amdhsa_memory_ordered 1
		.amdhsa_forward_progress 0
		.amdhsa_shared_vgpr_count 0
		.amdhsa_exception_fp_ieee_invalid_op 0
		.amdhsa_exception_fp_denorm_src 0
		.amdhsa_exception_fp_ieee_div_zero 0
		.amdhsa_exception_fp_ieee_overflow 0
		.amdhsa_exception_fp_ieee_underflow 0
		.amdhsa_exception_fp_ieee_inexact 0
		.amdhsa_exception_int_div_zero 0
	.end_amdhsa_kernel
	.text
.Lfunc_end0:
	.size	fft_rtc_fwd_len49_factors_7_7_wgs_196_tpt_7_sp_op_CI_CI_sbrc_xy_z_diag_dirReg, .Lfunc_end0-fft_rtc_fwd_len49_factors_7_7_wgs_196_tpt_7_sp_op_CI_CI_sbrc_xy_z_diag_dirReg
                                        ; -- End function
	.section	.AMDGPU.csdata,"",@progbits
; Kernel info:
; codeLenInByte = 2520
; NumSgprs: 25
; NumVgprs: 46
; ScratchSize: 0
; MemoryBound: 0
; FloatMode: 240
; IeeeMode: 1
; LDSByteSize: 0 bytes/workgroup (compile time only)
; SGPRBlocks: 3
; VGPRBlocks: 5
; NumSGPRsForWavesPerEU: 25
; NumVGPRsForWavesPerEU: 46
; Occupancy: 16
; WaveLimiterHint : 1
; COMPUTE_PGM_RSRC2:SCRATCH_EN: 0
; COMPUTE_PGM_RSRC2:USER_SGPR: 6
; COMPUTE_PGM_RSRC2:TRAP_HANDLER: 0
; COMPUTE_PGM_RSRC2:TGID_X_EN: 1
; COMPUTE_PGM_RSRC2:TGID_Y_EN: 0
; COMPUTE_PGM_RSRC2:TGID_Z_EN: 0
; COMPUTE_PGM_RSRC2:TIDIG_COMP_CNT: 0
	.text
	.p2alignl 6, 3214868480
	.fill 48, 4, 3214868480
	.type	__hip_cuid_e7a0b882ab58a5fc,@object ; @__hip_cuid_e7a0b882ab58a5fc
	.section	.bss,"aw",@nobits
	.globl	__hip_cuid_e7a0b882ab58a5fc
__hip_cuid_e7a0b882ab58a5fc:
	.byte	0                               ; 0x0
	.size	__hip_cuid_e7a0b882ab58a5fc, 1

	.ident	"AMD clang version 19.0.0git (https://github.com/RadeonOpenCompute/llvm-project roc-6.4.0 25133 c7fe45cf4b819c5991fe208aaa96edf142730f1d)"
	.section	".note.GNU-stack","",@progbits
	.addrsig
	.addrsig_sym __hip_cuid_e7a0b882ab58a5fc
	.amdgpu_metadata
---
amdhsa.kernels:
  - .args:
      - .actual_access:  read_only
        .address_space:  global
        .offset:         0
        .size:           8
        .value_kind:     global_buffer
      - .offset:         8
        .size:           8
        .value_kind:     by_value
      - .actual_access:  read_only
        .address_space:  global
        .offset:         16
        .size:           8
        .value_kind:     global_buffer
      - .actual_access:  read_only
        .address_space:  global
        .offset:         24
        .size:           8
        .value_kind:     global_buffer
      - .actual_access:  read_only
        .address_space:  global
        .offset:         32
        .size:           8
        .value_kind:     global_buffer
      - .offset:         40
        .size:           8
        .value_kind:     by_value
      - .actual_access:  read_only
        .address_space:  global
        .offset:         48
        .size:           8
        .value_kind:     global_buffer
      - .actual_access:  read_only
        .address_space:  global
        .offset:         56
        .size:           8
        .value_kind:     global_buffer
      - .offset:         64
        .size:           4
        .value_kind:     by_value
      - .actual_access:  read_only
        .address_space:  global
        .offset:         72
        .size:           8
        .value_kind:     global_buffer
      - .actual_access:  read_only
        .address_space:  global
        .offset:         80
        .size:           8
        .value_kind:     global_buffer
      - .actual_access:  read_only
        .address_space:  global
        .offset:         88
        .size:           8
        .value_kind:     global_buffer
      - .actual_access:  write_only
        .address_space:  global
        .offset:         96
        .size:           8
        .value_kind:     global_buffer
    .group_segment_fixed_size: 0
    .kernarg_segment_align: 8
    .kernarg_segment_size: 104
    .language:       OpenCL C
    .language_version:
      - 2
      - 0
    .max_flat_workgroup_size: 196
    .name:           fft_rtc_fwd_len49_factors_7_7_wgs_196_tpt_7_sp_op_CI_CI_sbrc_xy_z_diag_dirReg
    .private_segment_fixed_size: 0
    .sgpr_count:     25
    .sgpr_spill_count: 0
    .symbol:         fft_rtc_fwd_len49_factors_7_7_wgs_196_tpt_7_sp_op_CI_CI_sbrc_xy_z_diag_dirReg.kd
    .uniform_work_group_size: 1
    .uses_dynamic_stack: false
    .vgpr_count:     46
    .vgpr_spill_count: 0
    .wavefront_size: 32
    .workgroup_processor_mode: 1
amdhsa.target:   amdgcn-amd-amdhsa--gfx1030
amdhsa.version:
  - 1
  - 2
...

	.end_amdgpu_metadata
